;; amdgpu-corpus repo=ROCm/rocFFT kind=compiled arch=gfx1100 opt=O3
	.text
	.amdgcn_target "amdgcn-amd-amdhsa--gfx1100"
	.amdhsa_code_object_version 6
	.protected	bluestein_single_back_len750_dim1_dp_op_CI_CI ; -- Begin function bluestein_single_back_len750_dim1_dp_op_CI_CI
	.globl	bluestein_single_back_len750_dim1_dp_op_CI_CI
	.p2align	8
	.type	bluestein_single_back_len750_dim1_dp_op_CI_CI,@function
bluestein_single_back_len750_dim1_dp_op_CI_CI: ; @bluestein_single_back_len750_dim1_dp_op_CI_CI
; %bb.0:
	s_load_b128 s[4:7], s[0:1], 0x28
	v_mul_u32_u24_e32 v1, 0x107, v0
	s_mov_b32 s2, exec_lo
	v_mov_b32_e32 v81, 0
	s_delay_alu instid0(VALU_DEP_2) | instskip(NEXT) | instid1(VALU_DEP_1)
	v_lshrrev_b32_e32 v1, 16, v1
	v_add_nc_u32_e32 v80, s15, v1
	s_waitcnt lgkmcnt(0)
	s_delay_alu instid0(VALU_DEP_1)
	v_cmpx_gt_u64_e64 s[4:5], v[80:81]
	s_cbranch_execz .LBB0_31
; %bb.1:
	s_clause 0x1
	s_load_b64 s[14:15], s[0:1], 0x0
	s_load_b64 s[12:13], s[0:1], 0x38
	v_mul_lo_u16 v1, 0xfa, v1
	s_delay_alu instid0(VALU_DEP_1) | instskip(NEXT) | instid1(VALU_DEP_1)
	v_sub_nc_u16 v0, v0, v1
	v_and_b32_e32 v101, 0xffff, v0
	v_cmp_gt_u16_e32 vcc_lo, 0x4b, v0
	s_delay_alu instid0(VALU_DEP_2)
	v_lshlrev_b32_e32 v102, 4, v101
	s_and_saveexec_b32 s3, vcc_lo
	s_cbranch_execz .LBB0_3
; %bb.2:
	s_load_b64 s[4:5], s[0:1], 0x18
	s_waitcnt lgkmcnt(0)
	v_add_co_u32 v22, s2, s14, v102
	s_delay_alu instid0(VALU_DEP_1) | instskip(NEXT) | instid1(VALU_DEP_2)
	v_add_co_ci_u32_e64 v23, null, s15, 0, s2
	v_add_co_u32 v24, s2, 0x1000, v22
	s_delay_alu instid0(VALU_DEP_1) | instskip(SKIP_1) | instid1(VALU_DEP_1)
	v_add_co_ci_u32_e64 v25, s2, 0, v23, s2
	v_add_co_u32 v72, s2, 0x2000, v22
	v_add_co_ci_u32_e64 v73, s2, 0, v23, s2
	s_load_b128 s[8:11], s[4:5], 0x0
	s_clause 0x1
	global_load_b128 v[0:3], v102, s[14:15]
	global_load_b128 v[4:7], v102, s[14:15] offset:1200
	s_waitcnt lgkmcnt(0)
	v_mad_u64_u32 v[16:17], null, s10, v80, 0
	v_mad_u64_u32 v[18:19], null, s8, v101, 0
	s_mul_i32 s4, s9, 0x4b0
	s_mul_hi_u32 s5, s8, 0x4b0
	s_delay_alu instid0(SALU_CYCLE_1) | instskip(NEXT) | instid1(VALU_DEP_1)
	s_add_i32 s5, s5, s4
	v_dual_mov_b32 v8, v17 :: v_dual_mov_b32 v9, v19
	s_delay_alu instid0(VALU_DEP_1)
	v_mad_u64_u32 v[19:20], null, s11, v80, v[8:9]
	v_mad_u64_u32 v[20:21], null, s9, v101, v[9:10]
	s_clause 0x1
	global_load_b128 v[8:11], v102, s[14:15] offset:2400
	global_load_b128 v[12:15], v102, s[14:15] offset:3600
	v_mov_b32_e32 v17, v19
	v_mov_b32_e32 v19, v20
	s_delay_alu instid0(VALU_DEP_2) | instskip(NEXT) | instid1(VALU_DEP_2)
	v_lshlrev_b64 v[16:17], 4, v[16:17]
	v_lshlrev_b64 v[18:19], 4, v[18:19]
	s_delay_alu instid0(VALU_DEP_2) | instskip(NEXT) | instid1(VALU_DEP_1)
	v_add_co_u32 v16, s2, s6, v16
	v_add_co_ci_u32_e64 v17, s2, s7, v17, s2
	s_mul_i32 s6, s8, 0x4b0
	s_delay_alu instid0(VALU_DEP_2) | instskip(NEXT) | instid1(VALU_DEP_1)
	v_add_co_u32 v28, s2, v16, v18
	v_add_co_ci_u32_e64 v29, s2, v17, v19, s2
	s_clause 0x1
	global_load_b128 v[16:19], v[24:25], off offset:704
	global_load_b128 v[20:23], v[24:25], off offset:1904
	v_add_co_u32 v32, s2, v28, s6
	s_delay_alu instid0(VALU_DEP_1) | instskip(SKIP_2) | instid1(VALU_DEP_1)
	v_add_co_ci_u32_e64 v33, s2, s5, v29, s2
	global_load_b128 v[24:27], v[24:25], off offset:3104
	v_add_co_u32 v36, s2, v32, s6
	v_add_co_ci_u32_e64 v37, s2, s5, v33, s2
	s_clause 0x1
	global_load_b128 v[28:31], v[28:29], off
	global_load_b128 v[32:35], v[32:33], off
	v_add_co_u32 v40, s2, v36, s6
	s_delay_alu instid0(VALU_DEP_1) | instskip(NEXT) | instid1(VALU_DEP_2)
	v_add_co_ci_u32_e64 v41, s2, s5, v37, s2
	v_add_co_u32 v44, s2, v40, s6
	s_delay_alu instid0(VALU_DEP_1) | instskip(SKIP_4) | instid1(VALU_DEP_1)
	v_add_co_ci_u32_e64 v45, s2, s5, v41, s2
	s_clause 0x1
	global_load_b128 v[36:39], v[36:37], off
	global_load_b128 v[40:43], v[40:41], off
	v_add_co_u32 v48, s2, v44, s6
	v_add_co_ci_u32_e64 v49, s2, s5, v45, s2
	global_load_b128 v[44:47], v[44:45], off
	v_add_co_u32 v52, s2, v48, s6
	s_delay_alu instid0(VALU_DEP_1) | instskip(SKIP_2) | instid1(VALU_DEP_1)
	v_add_co_ci_u32_e64 v53, s2, s5, v49, s2
	global_load_b128 v[48:51], v[48:49], off
	v_add_co_u32 v56, s2, v52, s6
	v_add_co_ci_u32_e64 v57, s2, s5, v53, s2
	global_load_b128 v[52:55], v[52:53], off
	v_add_co_u32 v68, s2, v56, s6
	s_delay_alu instid0(VALU_DEP_1) | instskip(SKIP_2) | instid1(VALU_DEP_1)
	v_add_co_ci_u32_e64 v69, s2, s5, v57, s2
	global_load_b128 v[56:59], v[56:57], off
	v_add_co_u32 v76, s2, v68, s6
	v_add_co_ci_u32_e64 v77, s2, s5, v69, s2
	s_clause 0x1
	global_load_b128 v[60:63], v[72:73], off offset:208
	global_load_b128 v[64:67], v[72:73], off offset:1408
	global_load_b128 v[68:71], v[68:69], off
	global_load_b128 v[72:75], v[72:73], off offset:2608
	global_load_b128 v[76:79], v[76:77], off
	s_waitcnt vmcnt(12)
	v_mul_f64 v[81:82], v[30:31], v[2:3]
	v_mul_f64 v[2:3], v[28:29], v[2:3]
	s_waitcnt vmcnt(11)
	v_mul_f64 v[83:84], v[34:35], v[6:7]
	v_mul_f64 v[6:7], v[32:33], v[6:7]
	s_waitcnt vmcnt(10)
	v_mul_f64 v[85:86], v[38:39], v[10:11]
	v_mul_f64 v[10:11], v[36:37], v[10:11]
	s_waitcnt vmcnt(9)
	v_mul_f64 v[87:88], v[42:43], v[14:15]
	v_mul_f64 v[14:15], v[40:41], v[14:15]
	s_waitcnt vmcnt(8)
	v_mul_f64 v[89:90], v[46:47], v[18:19]
	v_mul_f64 v[18:19], v[44:45], v[18:19]
	s_waitcnt vmcnt(7)
	v_mul_f64 v[91:92], v[50:51], v[22:23]
	v_mul_f64 v[22:23], v[48:49], v[22:23]
	s_waitcnt vmcnt(6)
	v_mul_f64 v[93:94], v[54:55], v[26:27]
	v_mul_f64 v[95:96], v[52:53], v[26:27]
	s_waitcnt vmcnt(4)
	v_mul_f64 v[97:98], v[58:59], v[62:63]
	v_mul_f64 v[62:63], v[56:57], v[62:63]
	s_waitcnt vmcnt(2)
	v_mul_f64 v[99:100], v[70:71], v[66:67]
	v_mul_f64 v[66:67], v[68:69], v[66:67]
	s_waitcnt vmcnt(0)
	v_mul_f64 v[103:104], v[78:79], v[74:75]
	v_mul_f64 v[74:75], v[76:77], v[74:75]
	v_fma_f64 v[26:27], v[28:29], v[0:1], v[81:82]
	v_fma_f64 v[28:29], v[30:31], v[0:1], -v[2:3]
	v_fma_f64 v[0:1], v[32:33], v[4:5], v[83:84]
	v_fma_f64 v[2:3], v[34:35], v[4:5], -v[6:7]
	;; [unrolled: 2-line block ×10, first 2 shown]
	ds_store_b128 v102, v[26:29]
	ds_store_b128 v102, v[0:3] offset:1200
	ds_store_b128 v102, v[4:7] offset:2400
	ds_store_b128 v102, v[8:11] offset:3600
	ds_store_b128 v102, v[12:15] offset:4800
	ds_store_b128 v102, v[16:19] offset:6000
	ds_store_b128 v102, v[20:23] offset:7200
	ds_store_b128 v102, v[30:33] offset:8400
	ds_store_b128 v102, v[34:37] offset:9600
	ds_store_b128 v102, v[38:41] offset:10800
.LBB0_3:
	s_or_b32 exec_lo, exec_lo, s3
	s_waitcnt lgkmcnt(0)
	s_barrier
	buffer_gl0_inv
                                        ; implicit-def: $vgpr0_vgpr1
                                        ; implicit-def: $vgpr24_vgpr25
                                        ; implicit-def: $vgpr4_vgpr5
                                        ; implicit-def: $vgpr36_vgpr37
                                        ; implicit-def: $vgpr16_vgpr17
                                        ; implicit-def: $vgpr28_vgpr29
                                        ; implicit-def: $vgpr20_vgpr21
                                        ; implicit-def: $vgpr32_vgpr33
                                        ; implicit-def: $vgpr8_vgpr9
                                        ; implicit-def: $vgpr12_vgpr13
	s_and_saveexec_b32 s2, vcc_lo
	s_cbranch_execz .LBB0_5
; %bb.4:
	ds_load_b128 v[0:3], v102
	ds_load_b128 v[24:27], v102 offset:1200
	ds_load_b128 v[4:7], v102 offset:2400
	;; [unrolled: 1-line block ×9, first 2 shown]
.LBB0_5:
	s_or_b32 exec_lo, exec_lo, s2
	s_waitcnt lgkmcnt(2)
	v_add_f64 v[40:41], v[28:29], v[32:33]
	s_waitcnt lgkmcnt(0)
	v_add_f64 v[42:43], v[38:39], v[14:15]
	v_add_f64 v[44:45], v[36:37], v[12:13]
	;; [unrolled: 1-line block ×3, first 2 shown]
	v_add_f64 v[48:49], v[38:39], -v[14:15]
	v_add_f64 v[50:51], v[30:31], -v[34:35]
	;; [unrolled: 1-line block ×4, first 2 shown]
	s_mov_b32 s4, 0x134454ff
	s_mov_b32 s5, 0x3fee6f0e
	;; [unrolled: 1-line block ×4, first 2 shown]
	v_add_f64 v[56:57], v[16:17], v[20:21]
	v_add_f64 v[58:59], v[4:5], v[8:9]
	;; [unrolled: 1-line block ×4, first 2 shown]
	v_add_f64 v[64:65], v[36:37], -v[28:29]
	v_add_f64 v[66:67], v[12:13], -v[32:33]
	;; [unrolled: 1-line block ×8, first 2 shown]
	s_mov_b32 s8, 0x4755a5e
	s_mov_b32 s9, 0x3fe2cf23
	;; [unrolled: 1-line block ×4, first 2 shown]
	v_add_f64 v[89:90], v[2:3], v[6:7]
	v_add_f64 v[91:92], v[18:19], -v[22:23]
	v_add_f64 v[93:94], v[4:5], -v[8:9]
	v_add_f64 v[95:96], v[16:17], -v[20:21]
	s_mov_b32 s10, 0x372fe950
	s_mov_b32 s11, 0x3fd3c6ef
	;; [unrolled: 1-line block ×4, first 2 shown]
	v_mul_lo_u16 v104, v101, 10
	v_fma_f64 v[40:41], v[40:41], -0.5, v[24:25]
	v_fma_f64 v[42:43], v[42:43], -0.5, v[26:27]
	;; [unrolled: 1-line block ×4, first 2 shown]
	v_add_f64 v[24:25], v[24:25], v[36:37]
	v_add_f64 v[26:27], v[26:27], v[38:39]
	;; [unrolled: 1-line block ×3, first 2 shown]
	v_add_f64 v[38:39], v[6:7], -v[10:11]
	s_barrier
	buffer_gl0_inv
	v_fma_f64 v[56:57], v[56:57], -0.5, v[0:1]
	v_fma_f64 v[0:1], v[58:59], -0.5, v[0:1]
	;; [unrolled: 1-line block ×4, first 2 shown]
	v_add_f64 v[60:61], v[64:65], v[66:67]
	v_add_f64 v[62:63], v[68:69], v[70:71]
	v_add_f64 v[64:65], v[74:75], v[76:77]
	v_add_f64 v[74:75], v[20:21], -v[8:9]
	v_add_f64 v[76:77], v[6:7], -v[18:19]
	v_add_f64 v[6:7], v[18:19], -v[6:7]
	v_add_f64 v[18:19], v[89:90], v[18:19]
	v_fma_f64 v[78:79], v[48:49], s[4:5], v[40:41]
	v_fma_f64 v[81:82], v[52:53], s[4:5], v[42:43]
	;; [unrolled: 1-line block ×8, first 2 shown]
	v_add_f64 v[24:25], v[24:25], v[28:29]
	v_add_f64 v[26:27], v[26:27], v[30:31]
	v_fma_f64 v[28:29], v[38:39], s[4:5], v[56:57]
	v_fma_f64 v[30:31], v[38:39], s[2:3], v[56:57]
	;; [unrolled: 1-line block ×4, first 2 shown]
	v_add_f64 v[18:19], v[18:19], v[22:23]
	v_fma_f64 v[66:67], v[50:51], s[8:9], v[78:79]
	v_fma_f64 v[68:69], v[54:55], s[6:7], v[81:82]
	;; [unrolled: 1-line block ×4, first 2 shown]
	v_add_f64 v[50:51], v[72:73], v[85:86]
	v_fma_f64 v[44:45], v[48:49], s[8:9], v[44:45]
	v_fma_f64 v[42:43], v[54:55], s[8:9], v[42:43]
	;; [unrolled: 1-line block ×3, first 2 shown]
	v_add_f64 v[54:55], v[4:5], -v[16:17]
	v_add_f64 v[72:73], v[8:9], -v[20:21]
	;; [unrolled: 1-line block ×5, first 2 shown]
	v_add_f64 v[16:17], v[36:37], v[16:17]
	v_fma_f64 v[36:37], v[91:92], s[2:3], v[0:1]
	v_fma_f64 v[0:1], v[91:92], s[4:5], v[0:1]
	;; [unrolled: 1-line block ×5, first 2 shown]
	v_add_f64 v[22:23], v[26:27], v[34:35]
	v_fma_f64 v[26:27], v[91:92], s[6:7], v[30:31]
	v_fma_f64 v[30:31], v[95:96], s[6:7], v[56:57]
	v_add_f64 v[10:11], v[18:19], v[10:11]
	v_fma_f64 v[52:53], v[60:61], s[10:11], v[66:67]
	v_fma_f64 v[66:67], v[64:65], s[10:11], v[68:69]
	;; [unrolled: 1-line block ×7, first 2 shown]
	v_add_f64 v[54:55], v[54:55], v[72:73]
	v_add_f64 v[4:5], v[4:5], v[74:75]
	;; [unrolled: 1-line block ×6, first 2 shown]
	v_fma_f64 v[24:25], v[91:92], s[8:9], v[28:29]
	v_fma_f64 v[28:29], v[38:39], s[8:9], v[36:37]
	;; [unrolled: 1-line block ×7, first 2 shown]
	v_add_f64 v[14:15], v[22:23], v[14:15]
	v_mul_f64 v[38:39], v[52:53], s[16:17]
	v_mul_f64 v[46:47], v[66:67], s[4:5]
	;; [unrolled: 1-line block ×8, first 2 shown]
	v_add_f64 v[8:9], v[16:17], v[8:9]
	v_add_f64 v[12:13], v[20:21], v[12:13]
	v_fma_f64 v[70:71], v[54:55], s[10:11], v[24:25]
	v_fma_f64 v[54:55], v[54:55], s[10:11], v[26:27]
	v_fma_f64 v[72:73], v[4:5], s[10:11], v[28:29]
	v_fma_f64 v[0:1], v[4:5], s[10:11], v[0:1]
	v_fma_f64 v[4:5], v[60:61], s[10:11], v[30:31]
	v_fma_f64 v[60:61], v[60:61], s[10:11], v[32:33]
	v_fma_f64 v[74:75], v[6:7], s[10:11], v[34:35]
	v_fma_f64 v[2:3], v[6:7], s[10:11], v[2:3]
	v_add_f64 v[18:19], v[10:11], v[14:15]
	v_fma_f64 v[6:7], v[36:37], s[8:9], v[38:39]
	v_fma_f64 v[38:39], v[44:45], s[10:11], v[46:47]
	v_fma_f64 v[42:43], v[42:43], s[4:5], -v[50:51]
	v_fma_f64 v[46:47], v[48:49], s[8:9], -v[56:57]
	v_fma_f64 v[36:37], v[36:37], s[16:17], v[52:53]
	v_fma_f64 v[50:51], v[66:67], s[10:11], v[58:59]
	v_fma_f64 v[62:63], v[68:69], s[2:3], -v[62:63]
	v_fma_f64 v[64:65], v[40:41], s[6:7], -v[64:65]
	v_add_f64 v[58:59], v[10:11], -v[14:15]
	s_load_b64 s[2:3], s[0:1], 0x8
	v_add_f64 v[16:17], v[8:9], v[12:13]
	v_add_f64 v[56:57], v[8:9], -v[12:13]
	v_add_f64 v[20:21], v[70:71], v[6:7]
	v_add_f64 v[24:25], v[72:73], v[38:39]
	;; [unrolled: 1-line block ×8, first 2 shown]
	v_add_f64 v[44:45], v[70:71], -v[6:7]
	v_add_f64 v[52:53], v[72:73], -v[38:39]
	;; [unrolled: 1-line block ×8, first 2 shown]
	s_and_saveexec_b32 s4, vcc_lo
	s_cbranch_execz .LBB0_7
; %bb.6:
	v_and_b32_e32 v0, 0xffff, v104
	s_delay_alu instid0(VALU_DEP_1)
	v_lshlrev_b32_e32 v0, 4, v0
	ds_store_b128 v0, v[16:19]
	ds_store_b128 v0, v[20:23] offset:16
	ds_store_b128 v0, v[24:27] offset:32
	;; [unrolled: 1-line block ×9, first 2 shown]
.LBB0_7:
	s_or_b32 exec_lo, exec_lo, s4
	s_load_b64 s[4:5], s[0:1], 0x20
	v_cmp_gt_u16_e64 s0, 0x96, v101
	s_waitcnt lgkmcnt(0)
	s_barrier
	buffer_gl0_inv
	s_and_saveexec_b32 s1, s0
	s_cbranch_execz .LBB0_9
; %bb.8:
	ds_load_b128 v[16:19], v102
	ds_load_b128 v[20:23], v102 offset:2400
	ds_load_b128 v[24:27], v102 offset:4800
	;; [unrolled: 1-line block ×4, first 2 shown]
.LBB0_9:
	s_or_b32 exec_lo, exec_lo, s1
	v_and_b32_e32 v89, 0xff, v101
	s_mov_b32 s6, 0x134454ff
	s_mov_b32 s7, 0x3fee6f0e
	;; [unrolled: 1-line block ×4, first 2 shown]
	v_mul_lo_u16 v0, 0xcd, v89
	s_mov_b32 s11, 0xbfe2cf23
	s_delay_alu instid0(VALU_DEP_1) | instskip(NEXT) | instid1(VALU_DEP_1)
	v_lshrrev_b16 v100, 11, v0
	v_mul_lo_u16 v0, v100, 10
	s_delay_alu instid0(VALU_DEP_1) | instskip(NEXT) | instid1(VALU_DEP_1)
	v_sub_nc_u16 v0, v101, v0
	v_and_b32_e32 v103, 0xff, v0
	s_delay_alu instid0(VALU_DEP_1)
	v_lshlrev_b32_e32 v0, 6, v103
	s_clause 0x3
	global_load_b128 v[12:15], v0, s[2:3]
	global_load_b128 v[8:11], v0, s[2:3] offset:16
	global_load_b128 v[4:7], v0, s[2:3] offset:32
	;; [unrolled: 1-line block ×3, first 2 shown]
	s_waitcnt vmcnt(0) lgkmcnt(0)
	s_barrier
	buffer_gl0_inv
	v_mul_f64 v[36:37], v[22:23], v[14:15]
	v_mul_f64 v[38:39], v[20:21], v[14:15]
	;; [unrolled: 1-line block ×8, first 2 shown]
	v_fma_f64 v[68:69], v[20:21], v[12:13], -v[36:37]
	v_fma_f64 v[70:71], v[22:23], v[12:13], v[38:39]
	v_fma_f64 v[36:37], v[24:25], v[8:9], -v[60:61]
	v_fma_f64 v[38:39], v[26:27], v[8:9], v[62:63]
	v_fma_f64 v[24:25], v[28:29], v[4:5], -v[64:65]
	v_fma_f64 v[20:21], v[32:33], v[0:1], -v[66:67]
	v_fma_f64 v[26:27], v[30:31], v[4:5], v[72:73]
	v_fma_f64 v[22:23], v[34:35], v[0:1], v[74:75]
	v_add_f64 v[64:65], v[36:37], -v[68:69]
	v_add_f64 v[85:86], v[70:71], -v[38:39]
	v_add_f64 v[28:29], v[36:37], v[24:25]
	v_add_f64 v[30:31], v[68:69], v[20:21]
	;; [unrolled: 1-line block ×4, first 2 shown]
	v_add_f64 v[32:33], v[70:71], -v[22:23]
	v_add_f64 v[74:75], v[38:39], -v[26:27]
	;; [unrolled: 1-line block ×8, first 2 shown]
	v_fma_f64 v[28:29], v[28:29], -0.5, v[16:17]
	v_fma_f64 v[30:31], v[30:31], -0.5, v[16:17]
	;; [unrolled: 1-line block ×4, first 2 shown]
	v_add_f64 v[60:61], v[68:69], -v[36:37]
	v_add_f64 v[62:63], v[20:21], -v[24:25]
	v_add_f64 v[83:84], v[64:65], v[66:67]
	v_add_f64 v[85:86], v[85:86], v[87:88]
	;; [unrolled: 1-line block ×3, first 2 shown]
	v_fma_f64 v[94:95], v[32:33], s[8:9], v[28:29]
	v_fma_f64 v[96:97], v[74:75], s[6:7], v[30:31]
	;; [unrolled: 1-line block ×4, first 2 shown]
	s_mov_b32 s8, 0x4755a5e
	s_mov_b32 s9, 0x3fe2cf23
	;; [unrolled: 1-line block ×3, first 2 shown]
	v_add_f64 v[81:82], v[60:61], v[62:63]
	v_fma_f64 v[60:61], v[74:75], s[10:11], v[94:95]
	v_fma_f64 v[62:63], v[32:33], s[10:11], v[96:97]
	;; [unrolled: 1-line block ×4, first 2 shown]
	s_mov_b32 s10, 0x372fe950
	s_mov_b32 s11, 0x3fd3c6ef
	v_and_b32_e32 v105, 0xffff, v100
	v_fma_f64 v[64:65], v[81:82], s[10:11], v[60:61]
	v_fma_f64 v[60:61], v[83:84], s[10:11], v[62:63]
	v_fma_f64 v[66:67], v[85:86], s[10:11], v[66:67]
	v_fma_f64 v[62:63], v[87:88], s[10:11], v[90:91]
	s_and_saveexec_b32 s1, s0
	s_cbranch_execz .LBB0_11
; %bb.10:
	v_add_f64 v[18:19], v[18:19], v[70:71]
	v_add_f64 v[16:17], v[16:17], v[68:69]
	v_mul_f64 v[92:93], v[34:35], s[6:7]
	v_mul_f64 v[68:69], v[32:33], s[6:7]
	;; [unrolled: 1-line block ×8, first 2 shown]
	v_add_f64 v[18:19], v[18:19], v[38:39]
	v_add_f64 v[16:17], v[16:17], v[36:37]
	v_add_f64 v[72:73], v[72:73], -v[92:93]
	v_add_f64 v[28:29], v[28:29], v[68:69]
	v_add_f64 v[78:79], v[90:91], v[78:79]
	v_add_f64 v[30:31], v[30:31], -v[70:71]
	v_mul_f64 v[36:37], v[81:82], s[10:11]
	v_mul_f64 v[68:69], v[85:86], s[10:11]
	;; [unrolled: 1-line block ×4, first 2 shown]
	v_add_f64 v[26:27], v[18:19], v[26:27]
	v_add_f64 v[16:17], v[16:17], v[24:25]
	v_add_f64 v[72:73], v[72:73], -v[76:77]
	v_add_f64 v[74:75], v[74:75], v[28:29]
	v_add_f64 v[34:35], v[78:79], -v[34:35]
	v_add_f64 v[30:31], v[32:33], v[30:31]
	v_add_f64 v[28:29], v[26:27], v[22:23]
	;; [unrolled: 1-line block ×7, first 2 shown]
	v_mul_u32_u24_e32 v20, 50, v105
	s_delay_alu instid0(VALU_DEP_1)
	v_add_lshl_u32 v20, v20, v103, 4
	ds_store_b128 v20, v[26:29]
	ds_store_b128 v20, v[22:25] offset:160
	ds_store_b128 v20, v[16:19] offset:320
	;; [unrolled: 1-line block ×4, first 2 shown]
.LBB0_11:
	s_or_b32 exec_lo, exec_lo, s1
	v_mul_lo_u16 v16, v89, 41
	s_load_b128 s[4:7], s[4:5], 0x0
	s_waitcnt lgkmcnt(0)
	s_barrier
	buffer_gl0_inv
	v_lshrrev_b16 v81, 11, v16
	s_mov_b32 s8, 0xe8584caa
	s_mov_b32 s9, 0x3febb67a
	;; [unrolled: 1-line block ×4, first 2 shown]
	v_mul_lo_u16 v16, v81, 50
	s_delay_alu instid0(VALU_DEP_1) | instskip(NEXT) | instid1(VALU_DEP_1)
	v_sub_nc_u16 v16, v101, v16
	v_and_b32_e32 v82, 0xff, v16
	s_delay_alu instid0(VALU_DEP_1)
	v_lshlrev_b32_e32 v16, 5, v82
	s_clause 0x1
	global_load_b128 v[20:23], v16, s[2:3] offset:640
	global_load_b128 v[16:19], v16, s[2:3] offset:656
	ds_load_b128 v[24:27], v102 offset:4000
	ds_load_b128 v[28:31], v102 offset:8000
	s_waitcnt vmcnt(1) lgkmcnt(1)
	v_mul_f64 v[32:33], v[26:27], v[22:23]
	s_waitcnt vmcnt(0) lgkmcnt(0)
	v_mul_f64 v[34:35], v[30:31], v[18:19]
	v_mul_f64 v[36:37], v[24:25], v[22:23]
	;; [unrolled: 1-line block ×3, first 2 shown]
	s_delay_alu instid0(VALU_DEP_4) | instskip(NEXT) | instid1(VALU_DEP_4)
	v_fma_f64 v[32:33], v[24:25], v[20:21], -v[32:33]
	v_fma_f64 v[28:29], v[28:29], v[16:17], -v[34:35]
	s_delay_alu instid0(VALU_DEP_4) | instskip(NEXT) | instid1(VALU_DEP_4)
	v_fma_f64 v[34:35], v[26:27], v[20:21], v[36:37]
	v_fma_f64 v[30:31], v[30:31], v[16:17], v[38:39]
	ds_load_b128 v[24:27], v102
	s_waitcnt lgkmcnt(0)
	s_barrier
	buffer_gl0_inv
	v_add_f64 v[68:69], v[24:25], v[32:33]
	v_add_f64 v[36:37], v[32:33], v[28:29]
	v_add_f64 v[32:33], v[32:33], -v[28:29]
	v_add_f64 v[38:39], v[34:35], v[30:31]
	v_add_f64 v[74:75], v[34:35], -v[30:31]
	v_add_f64 v[34:35], v[26:27], v[34:35]
	v_add_f64 v[68:69], v[68:69], v[28:29]
	v_fma_f64 v[24:25], v[36:37], -0.5, v[24:25]
	v_fma_f64 v[26:27], v[38:39], -0.5, v[26:27]
	s_delay_alu instid0(VALU_DEP_4) | instskip(NEXT) | instid1(VALU_DEP_3)
	v_add_f64 v[70:71], v[34:35], v[30:31]
	v_fma_f64 v[72:73], v[74:75], s[8:9], v[24:25]
	v_fma_f64 v[76:77], v[74:75], s[10:11], v[24:25]
	s_delay_alu instid0(VALU_DEP_4) | instskip(SKIP_2) | instid1(VALU_DEP_1)
	v_fma_f64 v[74:75], v[32:33], s[10:11], v[26:27]
	v_fma_f64 v[78:79], v[32:33], s[8:9], v[26:27]
	v_and_b32_e32 v24, 0xffff, v81
	v_mul_u32_u24_e32 v24, 0x96, v24
	s_delay_alu instid0(VALU_DEP_1)
	v_add_lshl_u32 v106, v24, v82, 4
	ds_store_b128 v106, v[68:71]
	ds_store_b128 v106, v[72:75] offset:800
	ds_store_b128 v106, v[76:79] offset:1600
	s_waitcnt lgkmcnt(0)
	s_barrier
	buffer_gl0_inv
	s_and_saveexec_b32 s1, s0
	s_cbranch_execz .LBB0_13
; %bb.12:
	ds_load_b128 v[68:71], v102
	ds_load_b128 v[72:75], v102 offset:2400
	ds_load_b128 v[76:79], v102 offset:4800
	;; [unrolled: 1-line block ×4, first 2 shown]
.LBB0_13:
	s_or_b32 exec_lo, exec_lo, s1
	v_lshlrev_b32_e32 v24, 2, v101
	s_mov_b32 s9, 0xbfee6f0e
	s_delay_alu instid0(VALU_DEP_1) | instskip(NEXT) | instid1(VALU_DEP_1)
	v_add_co_u32 v26, s1, 0xfffffda8, v24
	v_add_co_ci_u32_e64 v25, null, 0, -1, s1
	s_delay_alu instid0(VALU_DEP_2) | instskip(NEXT) | instid1(VALU_DEP_2)
	v_cndmask_b32_e64 v24, v26, v24, s0
	v_cndmask_b32_e64 v25, v25, 0, s0
	s_delay_alu instid0(VALU_DEP_1) | instskip(NEXT) | instid1(VALU_DEP_1)
	v_lshlrev_b64 v[24:25], 4, v[24:25]
	v_add_co_u32 v32, s1, s2, v24
	s_delay_alu instid0(VALU_DEP_1)
	v_add_co_ci_u32_e64 v33, s1, s3, v25, s1
	s_mov_b32 s2, 0x134454ff
	s_mov_b32 s3, 0x3fee6f0e
	;; [unrolled: 1-line block ×3, first 2 shown]
	s_clause 0x3
	global_load_b128 v[28:31], v[32:33], off offset:2256
	global_load_b128 v[24:27], v[32:33], off offset:2272
	;; [unrolled: 1-line block ×4, first 2 shown]
	s_waitcnt vmcnt(3) lgkmcnt(2)
	v_mul_f64 v[81:82], v[78:79], v[30:31]
	s_waitcnt vmcnt(2) lgkmcnt(1)
	v_mul_f64 v[83:84], v[62:63], v[26:27]
	s_waitcnt vmcnt(1)
	v_mul_f64 v[85:86], v[74:75], v[38:39]
	s_waitcnt vmcnt(0) lgkmcnt(0)
	v_mul_f64 v[87:88], v[66:67], v[34:35]
	v_mul_f64 v[89:90], v[76:77], v[30:31]
	;; [unrolled: 1-line block ×5, first 2 shown]
	v_fma_f64 v[76:77], v[76:77], v[28:29], -v[81:82]
	v_fma_f64 v[60:61], v[60:61], v[24:25], -v[83:84]
	;; [unrolled: 1-line block ×4, first 2 shown]
	v_fma_f64 v[78:79], v[78:79], v[28:29], v[89:90]
	v_fma_f64 v[62:63], v[62:63], v[24:25], v[91:92]
	v_fma_f64 v[74:75], v[74:75], v[36:37], v[93:94]
	v_fma_f64 v[66:67], v[66:67], v[32:33], v[95:96]
	v_add_f64 v[81:82], v[76:77], v[60:61]
	v_add_f64 v[89:90], v[68:69], v[72:73]
	;; [unrolled: 1-line block ×3, first 2 shown]
	v_add_f64 v[97:98], v[76:77], -v[60:61]
	v_add_f64 v[85:86], v[78:79], v[62:63]
	v_add_f64 v[93:94], v[70:71], v[74:75]
	;; [unrolled: 1-line block ×3, first 2 shown]
	v_add_f64 v[91:92], v[74:75], -v[66:67]
	v_add_f64 v[95:96], v[78:79], -v[62:63]
	;; [unrolled: 1-line block ×8, first 2 shown]
	v_fma_f64 v[81:82], v[81:82], -0.5, v[68:69]
	v_fma_f64 v[68:69], v[83:84], -0.5, v[68:69]
	v_add_f64 v[83:84], v[72:73], -v[64:65]
	v_fma_f64 v[85:86], v[85:86], -0.5, v[70:71]
	v_add_f64 v[78:79], v[93:94], v[78:79]
	v_fma_f64 v[70:71], v[87:88], -0.5, v[70:71]
	v_add_f64 v[87:88], v[72:73], -v[76:77]
	v_add_f64 v[72:73], v[76:77], -v[72:73]
	v_add_f64 v[76:77], v[89:90], v[76:77]
	v_fma_f64 v[89:90], v[91:92], s[2:3], v[81:82]
	v_fma_f64 v[81:82], v[91:92], s[8:9], v[81:82]
	v_fma_f64 v[93:94], v[95:96], s[8:9], v[68:69]
	v_fma_f64 v[68:69], v[95:96], s[2:3], v[68:69]
	v_fma_f64 v[115:116], v[83:84], s[8:9], v[85:86]
	v_fma_f64 v[85:86], v[83:84], s[2:3], v[85:86]
	v_fma_f64 v[117:118], v[97:98], s[2:3], v[70:71]
	v_fma_f64 v[70:71], v[97:98], s[8:9], v[70:71]
	s_mov_b32 s2, 0x4755a5e
	s_mov_b32 s3, 0x3fe2cf23
	;; [unrolled: 1-line block ×4, first 2 shown]
	v_add_f64 v[87:88], v[87:88], v[99:100]
	v_add_f64 v[99:100], v[72:73], v[107:108]
	;; [unrolled: 1-line block ×6, first 2 shown]
	v_fma_f64 v[72:73], v[95:96], s[2:3], v[89:90]
	v_fma_f64 v[74:75], v[95:96], s[8:9], v[81:82]
	;; [unrolled: 1-line block ×8, first 2 shown]
	s_mov_b32 s2, 0x372fe950
	s_mov_b32 s3, 0x3fd3c6ef
	v_add_f64 v[60:61], v[60:61], v[64:65]
	v_add_f64 v[62:63], v[62:63], v[66:67]
	v_fma_f64 v[68:69], v[87:88], s[2:3], v[72:73]
	v_fma_f64 v[72:73], v[87:88], s[2:3], v[74:75]
	;; [unrolled: 1-line block ×8, first 2 shown]
	s_and_saveexec_b32 s1, s0
	s_cbranch_execz .LBB0_15
; %bb.14:
	ds_store_b128 v102, v[60:63]
	ds_store_b128 v102, v[68:71] offset:2400
	ds_store_b128 v102, v[64:67] offset:4800
	;; [unrolled: 1-line block ×4, first 2 shown]
.LBB0_15:
	s_or_b32 exec_lo, exec_lo, s1
	s_waitcnt lgkmcnt(0)
	s_barrier
	buffer_gl0_inv
	s_and_saveexec_b32 s2, vcc_lo
	s_cbranch_execz .LBB0_17
; %bb.16:
	v_add_co_u32 v111, s1, s14, v102
	s_delay_alu instid0(VALU_DEP_1) | instskip(NEXT) | instid1(VALU_DEP_2)
	v_add_co_ci_u32_e64 v112, null, s15, 0, s1
	v_add_co_u32 v81, s1, 0x2000, v111
	s_delay_alu instid0(VALU_DEP_1) | instskip(SKIP_1) | instid1(VALU_DEP_1)
	v_add_co_ci_u32_e64 v82, s1, 0, v112, s1
	v_add_co_u32 v93, s1, 0x2ee0, v111
	v_add_co_ci_u32_e64 v94, s1, 0, v112, s1
	global_load_b128 v[81:84], v[81:82], off offset:3808
	v_add_co_u32 v115, s1, 0x4000, v111
	s_delay_alu instid0(VALU_DEP_1)
	v_add_co_ci_u32_e64 v116, s1, 0, v112, s1
	v_add_co_u32 v123, s1, 0x5000, v111
	s_clause 0x4
	global_load_b128 v[85:88], v[93:94], off offset:1200
	global_load_b128 v[89:92], v[93:94], off offset:2400
	;; [unrolled: 1-line block ×5, first 2 shown]
	v_add_co_ci_u32_e64 v124, s1, 0, v112, s1
	s_clause 0x3
	global_load_b128 v[111:114], v[115:116], off offset:2816
	global_load_b128 v[115:118], v[115:116], off offset:4016
	;; [unrolled: 1-line block ×4, first 2 shown]
	ds_load_b128 v[127:130], v102
	ds_load_b128 v[131:134], v102 offset:1200
	ds_load_b128 v[135:138], v102 offset:2400
	ds_load_b128 v[139:142], v102 offset:3600
	ds_load_b128 v[143:146], v102 offset:4800
	ds_load_b128 v[147:150], v102 offset:6000
	ds_load_b128 v[151:154], v102 offset:7200
	ds_load_b128 v[155:158], v102 offset:8400
	ds_load_b128 v[159:162], v102 offset:9600
	ds_load_b128 v[163:166], v102 offset:10800
	s_waitcnt vmcnt(9) lgkmcnt(9)
	v_mul_f64 v[167:168], v[129:130], v[83:84]
	v_mul_f64 v[83:84], v[127:128], v[83:84]
	s_waitcnt vmcnt(8) lgkmcnt(8)
	v_mul_f64 v[169:170], v[133:134], v[87:88]
	v_mul_f64 v[87:88], v[131:132], v[87:88]
	;; [unrolled: 3-line block ×10, first 2 shown]
	v_fma_f64 v[125:126], v[127:128], v[81:82], -v[167:168]
	v_fma_f64 v[127:128], v[129:130], v[81:82], v[83:84]
	v_fma_f64 v[81:82], v[131:132], v[85:86], -v[169:170]
	v_fma_f64 v[83:84], v[133:134], v[85:86], v[87:88]
	;; [unrolled: 2-line block ×10, first 2 shown]
	ds_store_b128 v102, v[125:128]
	ds_store_b128 v102, v[81:84] offset:1200
	ds_store_b128 v102, v[85:88] offset:2400
	;; [unrolled: 1-line block ×9, first 2 shown]
.LBB0_17:
	s_or_b32 exec_lo, exec_lo, s2
	s_waitcnt lgkmcnt(0)
	s_barrier
	buffer_gl0_inv
	s_and_saveexec_b32 s1, vcc_lo
	s_cbranch_execz .LBB0_19
; %bb.18:
	ds_load_b128 v[60:63], v102
	ds_load_b128 v[68:71], v102 offset:1200
	ds_load_b128 v[64:67], v102 offset:2400
	;; [unrolled: 1-line block ×9, first 2 shown]
.LBB0_19:
	s_or_b32 exec_lo, exec_lo, s1
	s_waitcnt lgkmcnt(2)
	v_add_f64 v[81:82], v[58:59], v[54:55]
	s_waitcnt lgkmcnt(0)
	v_add_f64 v[83:84], v[78:79], v[50:51]
	v_add_f64 v[85:86], v[56:57], v[52:53]
	;; [unrolled: 1-line block ×3, first 2 shown]
	v_add_f64 v[89:90], v[76:77], -v[48:49]
	v_add_f64 v[91:92], v[56:57], -v[52:53]
	;; [unrolled: 1-line block ×3, first 2 shown]
	s_mov_b32 s10, 0x134454ff
	s_mov_b32 s11, 0xbfee6f0e
	;; [unrolled: 1-line block ×4, first 2 shown]
	v_add_f64 v[95:96], v[72:73], v[44:45]
	v_add_f64 v[97:98], v[64:65], v[40:41]
	;; [unrolled: 1-line block ×4, first 2 shown]
	v_add_f64 v[109:110], v[58:59], -v[54:55]
	v_add_f64 v[111:112], v[76:77], -v[56:57]
	v_add_f64 v[113:114], v[48:49], -v[52:53]
	v_add_f64 v[115:116], v[78:79], -v[58:59]
	v_add_f64 v[117:118], v[50:51], -v[54:55]
	v_add_f64 v[119:120], v[58:59], -v[78:79]
	v_add_f64 v[121:122], v[54:55], -v[50:51]
	s_mov_b32 s16, 0x4755a5e
	s_mov_b32 s17, 0xbfe2cf23
	s_mov_b32 s9, 0x3fe2cf23
	s_mov_b32 s8, s16
	v_add_f64 v[129:130], v[60:61], v[64:65]
	v_add_f64 v[131:132], v[66:67], -v[42:43]
	v_add_f64 v[133:134], v[74:75], -v[46:47]
	v_add_f64 v[135:136], v[62:63], v[66:67]
	v_add_f64 v[137:138], v[64:65], -v[40:41]
	v_add_f64 v[139:140], v[72:73], -v[44:45]
	;; [unrolled: 1-line block ×3, first 2 shown]
	s_mov_b32 s18, 0x372fe950
	s_mov_b32 s19, 0x3fd3c6ef
	;; [unrolled: 1-line block ×5, first 2 shown]
	v_fma_f64 v[81:82], v[81:82], -0.5, v[70:71]
	v_fma_f64 v[83:84], v[83:84], -0.5, v[70:71]
	;; [unrolled: 1-line block ×4, first 2 shown]
	v_add_f64 v[68:69], v[68:69], v[76:77]
	v_add_f64 v[76:77], v[56:57], -v[76:77]
	v_add_f64 v[70:71], v[70:71], v[78:79]
	s_mov_b32 s25, 0xbfe9e377
	s_mov_b32 s22, s18
	;; [unrolled: 1-line block ×3, first 2 shown]
	v_fma_f64 v[78:79], v[95:96], -0.5, v[60:61]
	v_fma_f64 v[60:61], v[97:98], -0.5, v[60:61]
	;; [unrolled: 1-line block ×4, first 2 shown]
	s_barrier
	buffer_gl0_inv
	v_add_f64 v[97:98], v[111:112], v[113:114]
	v_add_f64 v[99:100], v[115:116], v[117:118]
	v_add_f64 v[117:118], v[40:41], -v[44:45]
	v_add_f64 v[107:108], v[119:120], v[121:122]
	v_add_f64 v[119:120], v[44:45], -v[40:41]
	v_add_f64 v[121:122], v[66:67], -v[74:75]
	;; [unrolled: 1-line block ×3, first 2 shown]
	v_add_f64 v[74:75], v[135:136], v[74:75]
	v_fma_f64 v[123:124], v[89:90], s[2:3], v[81:82]
	v_fma_f64 v[125:126], v[91:92], s[10:11], v[83:84]
	;; [unrolled: 1-line block ×8, first 2 shown]
	v_add_f64 v[56:57], v[68:69], v[56:57]
	v_add_f64 v[68:69], v[76:77], v[141:142]
	;; [unrolled: 1-line block ×3, first 2 shown]
	v_fma_f64 v[70:71], v[131:132], s[10:11], v[78:79]
	v_fma_f64 v[76:77], v[131:132], s[2:3], v[78:79]
	;; [unrolled: 1-line block ×9, first 2 shown]
	v_add_f64 v[91:92], v[64:65], -v[72:73]
	v_add_f64 v[64:65], v[72:73], -v[64:65]
	;; [unrolled: 1-line block ×4, first 2 shown]
	v_add_f64 v[72:73], v[129:130], v[72:73]
	v_fma_f64 v[127:128], v[137:138], s[2:3], v[95:96]
	v_fma_f64 v[95:96], v[137:138], s[10:11], v[95:96]
	;; [unrolled: 1-line block ×7, first 2 shown]
	v_add_f64 v[46:47], v[74:75], v[46:47]
	v_add_f64 v[52:53], v[56:57], v[52:53]
	;; [unrolled: 1-line block ×3, first 2 shown]
	v_fma_f64 v[56:57], v[133:134], s[16:17], v[70:71]
	v_fma_f64 v[58:59], v[133:134], s[8:9], v[76:77]
	;; [unrolled: 1-line block ×8, first 2 shown]
	v_add_f64 v[91:92], v[91:92], v[117:118]
	v_add_f64 v[99:100], v[64:65], v[119:120]
	;; [unrolled: 1-line block ×5, first 2 shown]
	v_fma_f64 v[72:73], v[131:132], s[8:9], v[60:61]
	v_fma_f64 v[74:75], v[139:140], s[8:9], v[127:128]
	;; [unrolled: 1-line block ×8, first 2 shown]
	v_add_f64 v[64:65], v[52:53], v[48:49]
	v_mul_f64 v[117:118], v[111:112], s[16:17]
	v_mul_f64 v[119:120], v[93:94], s[10:11]
	;; [unrolled: 1-line block ×8, first 2 shown]
	v_add_f64 v[81:82], v[46:47], v[42:43]
	v_add_f64 v[60:61], v[44:45], v[40:41]
	;; [unrolled: 1-line block ×3, first 2 shown]
	v_fma_f64 v[66:67], v[91:92], s[18:19], v[56:57]
	v_fma_f64 v[62:63], v[91:92], s[18:19], v[58:59]
	;; [unrolled: 1-line block ×16, first 2 shown]
	v_add_f64 v[40:41], v[60:61], v[64:65]
	v_add_f64 v[42:43], v[81:82], v[83:84]
	;; [unrolled: 1-line block ×10, first 2 shown]
	s_and_saveexec_b32 s1, vcc_lo
	s_cbranch_execz .LBB0_21
; %bb.20:
	v_add_f64 v[83:84], v[81:82], -v[83:84]
	v_add_f64 v[81:82], v[60:61], -v[64:65]
	;; [unrolled: 1-line block ×10, first 2 shown]
	v_and_b32_e32 v60, 0xffff, v104
	s_delay_alu instid0(VALU_DEP_1)
	v_lshlrev_b32_e32 v60, 4, v60
	ds_store_b128 v60, v[40:43]
	ds_store_b128 v60, v[44:47] offset:16
	ds_store_b128 v60, v[48:51] offset:32
	;; [unrolled: 1-line block ×9, first 2 shown]
.LBB0_21:
	s_or_b32 exec_lo, exec_lo, s1
	s_waitcnt lgkmcnt(0)
	s_barrier
	buffer_gl0_inv
	s_and_saveexec_b32 s1, s0
	s_cbranch_execz .LBB0_23
; %bb.22:
	ds_load_b128 v[40:43], v102
	ds_load_b128 v[44:47], v102 offset:2400
	ds_load_b128 v[48:51], v102 offset:4800
	;; [unrolled: 1-line block ×4, first 2 shown]
.LBB0_23:
	s_or_b32 exec_lo, exec_lo, s1
	s_waitcnt lgkmcnt(3)
	v_mul_f64 v[60:61], v[14:15], v[46:47]
	v_mul_f64 v[14:15], v[14:15], v[44:45]
	s_waitcnt lgkmcnt(2)
	v_mul_f64 v[64:65], v[10:11], v[50:51]
	v_mul_f64 v[10:11], v[10:11], v[48:49]
	s_waitcnt lgkmcnt(1)
	v_mul_f64 v[66:67], v[6:7], v[54:55]
	s_waitcnt lgkmcnt(0)
	v_mul_f64 v[68:69], v[2:3], v[58:59]
	v_mul_f64 v[6:7], v[6:7], v[52:53]
	;; [unrolled: 1-line block ×3, first 2 shown]
	s_mov_b32 s2, 0x134454ff
	s_mov_b32 s3, 0x3fee6f0e
	;; [unrolled: 1-line block ×5, first 2 shown]
	s_barrier
	buffer_gl0_inv
	v_fma_f64 v[60:61], v[12:13], v[44:45], v[60:61]
	v_fma_f64 v[62:63], v[12:13], v[46:47], -v[14:15]
	v_fma_f64 v[44:45], v[8:9], v[48:49], v[64:65]
	v_fma_f64 v[46:47], v[8:9], v[50:51], -v[10:11]
	v_fma_f64 v[12:13], v[4:5], v[52:53], v[66:67]
	v_fma_f64 v[8:9], v[0:1], v[56:57], v[68:69]
	v_fma_f64 v[14:15], v[4:5], v[54:55], -v[6:7]
	v_fma_f64 v[10:11], v[0:1], v[58:59], -v[2:3]
	v_add_f64 v[72:73], v[62:63], -v[46:47]
	v_add_f64 v[0:1], v[44:45], v[12:13]
	v_add_f64 v[2:3], v[60:61], v[8:9]
	;; [unrolled: 1-line block ×4, first 2 shown]
	v_add_f64 v[52:53], v[62:63], -v[10:11]
	v_add_f64 v[58:59], v[46:47], -v[14:15]
	;; [unrolled: 1-line block ×7, first 2 shown]
	v_fma_f64 v[48:49], v[0:1], -0.5, v[40:41]
	v_fma_f64 v[50:51], v[2:3], -0.5, v[40:41]
	;; [unrolled: 1-line block ×4, first 2 shown]
	v_add_f64 v[0:1], v[60:61], -v[44:45]
	v_add_f64 v[2:3], v[8:9], -v[12:13]
	;; [unrolled: 1-line block ×4, first 2 shown]
	v_add_f64 v[72:73], v[72:73], v[74:75]
	v_add_f64 v[74:75], v[76:77], v[78:79]
	v_fma_f64 v[81:82], v[52:53], s[2:3], v[48:49]
	v_fma_f64 v[83:84], v[58:59], s[8:9], v[50:51]
	;; [unrolled: 1-line block ×4, first 2 shown]
	s_mov_b32 s8, 0x4755a5e
	s_mov_b32 s9, 0x3fe2cf23
	;; [unrolled: 1-line block ×3, first 2 shown]
	v_add_f64 v[68:69], v[0:1], v[2:3]
	v_add_f64 v[70:71], v[4:5], v[6:7]
	v_fma_f64 v[0:1], v[58:59], s[8:9], v[81:82]
	v_fma_f64 v[2:3], v[52:53], s[8:9], v[83:84]
	;; [unrolled: 1-line block ×4, first 2 shown]
	s_mov_b32 s10, 0x372fe950
	s_mov_b32 s11, 0x3fd3c6ef
	s_delay_alu instid0(VALU_DEP_4) | instid1(SALU_CYCLE_1)
	v_fma_f64 v[4:5], v[68:69], s[10:11], v[0:1]
	s_delay_alu instid0(VALU_DEP_4) | instskip(NEXT) | instid1(VALU_DEP_4)
	v_fma_f64 v[0:1], v[70:71], s[10:11], v[2:3]
	v_fma_f64 v[6:7], v[72:73], s[10:11], v[6:7]
	s_delay_alu instid0(VALU_DEP_4)
	v_fma_f64 v[2:3], v[74:75], s[10:11], v[76:77]
	s_and_saveexec_b32 s1, s0
	s_cbranch_execz .LBB0_25
; %bb.24:
	v_add_f64 v[42:43], v[42:43], v[62:63]
	v_add_f64 v[40:41], v[40:41], v[60:61]
	v_mul_f64 v[78:79], v[54:55], s[2:3]
	v_mul_f64 v[60:61], v[52:53], s[2:3]
	;; [unrolled: 1-line block ×8, first 2 shown]
	v_add_f64 v[42:43], v[42:43], v[46:47]
	v_add_f64 v[40:41], v[40:41], v[44:45]
	;; [unrolled: 1-line block ×3, first 2 shown]
	v_add_f64 v[44:45], v[48:49], -v[60:61]
	v_add_f64 v[66:67], v[66:67], -v[76:77]
	v_add_f64 v[46:47], v[62:63], v[50:51]
	v_mul_f64 v[48:49], v[68:69], s[10:11]
	v_mul_f64 v[60:61], v[72:73], s[10:11]
	;; [unrolled: 1-line block ×4, first 2 shown]
	v_add_f64 v[14:15], v[42:43], v[14:15]
	v_add_f64 v[40:41], v[40:41], v[12:13]
	;; [unrolled: 1-line block ×3, first 2 shown]
	v_add_f64 v[58:59], v[44:45], -v[58:59]
	v_add_f64 v[54:55], v[54:55], v[66:67]
	v_add_f64 v[52:53], v[46:47], -v[52:53]
	v_add_f64 v[46:47], v[14:15], v[10:11]
	v_add_f64 v[44:45], v[40:41], v[8:9]
	;; [unrolled: 1-line block ×6, first 2 shown]
	v_mul_u32_u24_e32 v8, 50, v105
	s_delay_alu instid0(VALU_DEP_1)
	v_add_lshl_u32 v8, v8, v103, 4
	ds_store_b128 v8, v[44:47]
	ds_store_b128 v8, v[40:43] offset:160
	ds_store_b128 v8, v[10:13] offset:320
	;; [unrolled: 1-line block ×4, first 2 shown]
.LBB0_25:
	s_or_b32 exec_lo, exec_lo, s1
	s_waitcnt lgkmcnt(0)
	s_barrier
	buffer_gl0_inv
	ds_load_b128 v[8:11], v102 offset:4000
	ds_load_b128 v[12:15], v102 offset:8000
	s_mov_b32 s2, 0xe8584caa
	s_mov_b32 s3, 0xbfebb67a
	s_mov_b32 s9, 0x3febb67a
	s_mov_b32 s8, s2
	s_waitcnt lgkmcnt(1)
	v_mul_f64 v[40:41], v[22:23], v[10:11]
	s_waitcnt lgkmcnt(0)
	v_mul_f64 v[42:43], v[18:19], v[14:15]
	v_mul_f64 v[22:23], v[22:23], v[8:9]
	;; [unrolled: 1-line block ×3, first 2 shown]
	s_delay_alu instid0(VALU_DEP_4) | instskip(NEXT) | instid1(VALU_DEP_4)
	v_fma_f64 v[40:41], v[20:21], v[8:9], v[40:41]
	v_fma_f64 v[12:13], v[16:17], v[12:13], v[42:43]
	s_delay_alu instid0(VALU_DEP_4) | instskip(NEXT) | instid1(VALU_DEP_4)
	v_fma_f64 v[20:21], v[20:21], v[10:11], -v[22:23]
	v_fma_f64 v[14:15], v[16:17], v[14:15], -v[18:19]
	ds_load_b128 v[8:11], v102
	s_waitcnt lgkmcnt(0)
	s_barrier
	buffer_gl0_inv
	v_add_f64 v[22:23], v[8:9], v[40:41]
	v_add_f64 v[16:17], v[40:41], v[12:13]
	v_add_f64 v[40:41], v[40:41], -v[12:13]
	v_add_f64 v[18:19], v[20:21], v[14:15]
	v_add_f64 v[42:43], v[20:21], -v[14:15]
	v_add_f64 v[20:21], v[10:11], v[20:21]
	v_fma_f64 v[16:17], v[16:17], -0.5, v[8:9]
	v_add_f64 v[8:9], v[22:23], v[12:13]
	v_fma_f64 v[18:19], v[18:19], -0.5, v[10:11]
	s_delay_alu instid0(VALU_DEP_4) | instskip(NEXT) | instid1(VALU_DEP_4)
	v_add_f64 v[10:11], v[20:21], v[14:15]
	v_fma_f64 v[12:13], v[42:43], s[2:3], v[16:17]
	v_fma_f64 v[16:17], v[42:43], s[8:9], v[16:17]
	s_delay_alu instid0(VALU_DEP_4)
	v_fma_f64 v[14:15], v[40:41], s[8:9], v[18:19]
	v_fma_f64 v[18:19], v[40:41], s[2:3], v[18:19]
	ds_store_b128 v106, v[8:11]
	ds_store_b128 v106, v[12:15] offset:800
	ds_store_b128 v106, v[16:19] offset:1600
	s_waitcnt lgkmcnt(0)
	s_barrier
	buffer_gl0_inv
	s_and_saveexec_b32 s1, s0
	s_cbranch_execz .LBB0_27
; %bb.26:
	ds_load_b128 v[8:11], v102
	ds_load_b128 v[12:15], v102 offset:2400
	ds_load_b128 v[16:19], v102 offset:4800
	;; [unrolled: 1-line block ×4, first 2 shown]
.LBB0_27:
	s_or_b32 exec_lo, exec_lo, s1
	s_and_saveexec_b32 s1, s0
	s_cbranch_execz .LBB0_29
; %bb.28:
	s_waitcnt lgkmcnt(2)
	v_mul_f64 v[20:21], v[30:31], v[16:17]
	v_mul_f64 v[22:23], v[38:39], v[12:13]
	s_waitcnt lgkmcnt(0)
	v_mul_f64 v[40:41], v[34:35], v[4:5]
	v_mul_f64 v[42:43], v[26:27], v[0:1]
	;; [unrolled: 1-line block ×6, first 2 shown]
	s_mov_b32 s2, 0x134454ff
	s_mov_b32 s3, 0x3fee6f0e
	;; [unrolled: 1-line block ×4, first 2 shown]
	v_fma_f64 v[18:19], v[28:29], v[18:19], -v[20:21]
	v_fma_f64 v[14:15], v[36:37], v[14:15], -v[22:23]
	;; [unrolled: 1-line block ×4, first 2 shown]
	v_fma_f64 v[16:17], v[28:29], v[16:17], v[30:31]
	v_fma_f64 v[0:1], v[24:25], v[0:1], v[26:27]
	;; [unrolled: 1-line block ×4, first 2 shown]
	v_add_f64 v[32:33], v[10:11], v[14:15]
	v_add_f64 v[20:21], v[14:15], v[6:7]
	;; [unrolled: 1-line block ×3, first 2 shown]
	v_add_f64 v[36:37], v[14:15], -v[6:7]
	v_add_f64 v[24:25], v[16:17], v[0:1]
	v_add_f64 v[34:35], v[8:9], v[12:13]
	v_add_f64 v[26:27], v[12:13], v[4:5]
	v_add_f64 v[28:29], v[16:17], -v[0:1]
	v_add_f64 v[30:31], v[12:13], -v[4:5]
	;; [unrolled: 1-line block ×8, first 2 shown]
	v_fma_f64 v[20:21], v[20:21], -0.5, v[10:11]
	v_fma_f64 v[10:11], v[22:23], -0.5, v[10:11]
	v_add_f64 v[22:23], v[18:19], -v[2:3]
	v_fma_f64 v[24:25], v[24:25], -0.5, v[8:9]
	v_add_f64 v[16:17], v[34:35], v[16:17]
	v_fma_f64 v[8:9], v[26:27], -0.5, v[8:9]
	v_add_f64 v[26:27], v[18:19], -v[14:15]
	v_add_f64 v[14:15], v[14:15], -v[18:19]
	v_add_f64 v[18:19], v[32:33], v[18:19]
	v_add_f64 v[12:13], v[12:13], v[46:47]
	v_fma_f64 v[32:33], v[28:29], s[2:3], v[20:21]
	v_fma_f64 v[20:21], v[28:29], s[8:9], v[20:21]
	;; [unrolled: 1-line block ×8, first 2 shown]
	s_mov_b32 s2, 0x4755a5e
	s_mov_b32 s3, 0xbfe2cf23
	;; [unrolled: 1-line block ×4, first 2 shown]
	v_add_f64 v[2:3], v[18:19], v[2:3]
	v_add_f64 v[0:1], v[16:17], v[0:1]
	v_add_f64 v[26:27], v[26:27], v[38:39]
	v_add_f64 v[38:39], v[14:15], v[40:41]
	v_add_f64 v[40:41], v[42:43], v[44:45]
	v_fma_f64 v[14:15], v[30:31], s[2:3], v[32:33]
	v_fma_f64 v[16:17], v[30:31], s[8:9], v[20:21]
	;; [unrolled: 1-line block ×8, first 2 shown]
	s_mov_b32 s2, 0x372fe950
	s_mov_b32 s3, 0x3fd3c6ef
	v_add_f64 v[2:3], v[2:3], v[6:7]
	v_add_f64 v[0:1], v[0:1], v[4:5]
	v_fma_f64 v[6:7], v[26:27], s[2:3], v[14:15]
	v_fma_f64 v[10:11], v[26:27], s[2:3], v[16:17]
	;; [unrolled: 1-line block ×8, first 2 shown]
	ds_store_b128 v102, v[0:3]
	ds_store_b128 v102, v[16:19] offset:2400
	ds_store_b128 v102, v[8:11] offset:4800
	;; [unrolled: 1-line block ×4, first 2 shown]
.LBB0_29:
	s_or_b32 exec_lo, exec_lo, s1
	s_waitcnt lgkmcnt(0)
	s_barrier
	buffer_gl0_inv
	s_and_b32 exec_lo, exec_lo, vcc_lo
	s_cbranch_execz .LBB0_31
; %bb.30:
	v_add_co_u32 v20, s0, s14, v102
	s_delay_alu instid0(VALU_DEP_1) | instskip(SKIP_1) | instid1(VALU_DEP_3)
	v_add_co_ci_u32_e64 v21, null, s15, 0, s0
	v_mad_u64_u32 v[81:82], null, s6, v80, 0
	v_add_co_u32 v24, vcc_lo, 0x1000, v20
	s_delay_alu instid0(VALU_DEP_3)
	v_add_co_ci_u32_e32 v25, vcc_lo, 0, v21, vcc_lo
	s_clause 0x4
	global_load_b128 v[0:3], v102, s[14:15]
	global_load_b128 v[4:7], v102, s[14:15] offset:1200
	global_load_b128 v[8:11], v102, s[14:15] offset:2400
	;; [unrolled: 1-line block ×3, first 2 shown]
	global_load_b128 v[16:19], v[24:25], off offset:704
	v_add_co_u32 v36, vcc_lo, 0x2000, v20
	v_add_co_ci_u32_e32 v37, vcc_lo, 0, v21, vcc_lo
	s_clause 0x4
	global_load_b128 v[20:23], v[24:25], off offset:1904
	global_load_b128 v[24:27], v[24:25], off offset:3104
	;; [unrolled: 1-line block ×5, first 2 shown]
	ds_load_b128 v[40:43], v102
	ds_load_b128 v[44:47], v102 offset:1200
	ds_load_b128 v[48:51], v102 offset:2400
	;; [unrolled: 1-line block ×9, first 2 shown]
	v_mad_u64_u32 v[83:84], null, s4, v101, 0
	s_mul_i32 s0, s5, 0x4b0
	s_mul_hi_u32 s1, s4, 0x4b0
	s_mul_i32 s2, s4, 0x4b0
	s_add_i32 s3, s1, s0
	s_mov_b32 s0, 0xc3ece2a5
	s_mov_b32 s1, 0x3f55d867
	s_delay_alu instid0(VALU_DEP_1) | instskip(NEXT) | instid1(VALU_DEP_1)
	v_mad_u64_u32 v[85:86], null, s7, v80, v[82:83]
	v_mad_u64_u32 v[108:109], null, s5, v101, v[84:85]
	v_mov_b32_e32 v82, v85
	s_delay_alu instid0(VALU_DEP_1) | instskip(NEXT) | instid1(VALU_DEP_3)
	v_lshlrev_b64 v[80:81], 4, v[81:82]
	v_mov_b32_e32 v84, v108
	s_delay_alu instid0(VALU_DEP_1) | instskip(NEXT) | instid1(VALU_DEP_3)
	v_lshlrev_b64 v[82:83], 4, v[83:84]
	v_add_co_u32 v80, vcc_lo, s12, v80
	s_delay_alu instid0(VALU_DEP_4)
	v_add_co_ci_u32_e32 v81, vcc_lo, s13, v81, vcc_lo
	s_waitcnt vmcnt(9) lgkmcnt(9)
	v_mul_f64 v[86:87], v[42:43], v[2:3]
	v_mul_f64 v[2:3], v[40:41], v[2:3]
	s_waitcnt vmcnt(8) lgkmcnt(8)
	v_mul_f64 v[88:89], v[46:47], v[6:7]
	v_mul_f64 v[6:7], v[44:45], v[6:7]
	s_waitcnt vmcnt(7) lgkmcnt(7)
	v_mul_f64 v[90:91], v[50:51], v[10:11]
	v_mul_f64 v[10:11], v[48:49], v[10:11]
	s_waitcnt vmcnt(6) lgkmcnt(6)
	v_mul_f64 v[92:93], v[54:55], v[14:15]
	v_mul_f64 v[14:15], v[52:53], v[14:15]
	s_waitcnt vmcnt(5) lgkmcnt(5)
	v_mul_f64 v[94:95], v[58:59], v[18:19]
	v_mul_f64 v[18:19], v[56:57], v[18:19]
	s_waitcnt vmcnt(4) lgkmcnt(4)
	v_mul_f64 v[96:97], v[62:63], v[22:23]
	v_mul_f64 v[22:23], v[60:61], v[22:23]
	s_waitcnt vmcnt(3) lgkmcnt(3)
	v_mul_f64 v[98:99], v[66:67], v[26:27]
	v_mul_f64 v[26:27], v[64:65], v[26:27]
	s_waitcnt vmcnt(2) lgkmcnt(2)
	v_mul_f64 v[102:103], v[70:71], v[30:31]
	v_mul_f64 v[30:31], v[68:69], v[30:31]
	s_waitcnt vmcnt(1) lgkmcnt(1)
	v_mul_f64 v[104:105], v[74:75], v[34:35]
	v_mul_f64 v[34:35], v[72:73], v[34:35]
	s_waitcnt vmcnt(0) lgkmcnt(0)
	v_mul_f64 v[106:107], v[78:79], v[38:39]
	v_mul_f64 v[38:39], v[76:77], v[38:39]
	v_fma_f64 v[40:41], v[40:41], v[0:1], v[86:87]
	v_fma_f64 v[2:3], v[0:1], v[42:43], -v[2:3]
	v_fma_f64 v[42:43], v[44:45], v[4:5], v[88:89]
	v_fma_f64 v[6:7], v[4:5], v[46:47], -v[6:7]
	;; [unrolled: 2-line block ×10, first 2 shown]
	v_add_co_u32 v60, vcc_lo, v80, v82
	v_add_co_ci_u32_e32 v61, vcc_lo, v81, v83, vcc_lo
	s_delay_alu instid0(VALU_DEP_2) | instskip(NEXT) | instid1(VALU_DEP_2)
	v_add_co_u32 v62, vcc_lo, v60, s2
	v_add_co_ci_u32_e32 v63, vcc_lo, s3, v61, vcc_lo
	s_delay_alu instid0(VALU_DEP_2) | instskip(NEXT) | instid1(VALU_DEP_2)
	;; [unrolled: 3-line block ×3, first 2 shown]
	v_add_co_u32 v66, vcc_lo, v64, s2
	v_add_co_ci_u32_e32 v67, vcc_lo, s3, v65, vcc_lo
	v_mul_f64 v[0:1], v[40:41], s[0:1]
	v_mul_f64 v[2:3], v[2:3], s[0:1]
	;; [unrolled: 1-line block ×20, first 2 shown]
	v_add_co_u32 v40, vcc_lo, v66, s2
	v_add_co_ci_u32_e32 v41, vcc_lo, s3, v67, vcc_lo
	s_delay_alu instid0(VALU_DEP_2) | instskip(NEXT) | instid1(VALU_DEP_2)
	v_add_co_u32 v42, vcc_lo, v40, s2
	v_add_co_ci_u32_e32 v43, vcc_lo, s3, v41, vcc_lo
	s_delay_alu instid0(VALU_DEP_2) | instskip(NEXT) | instid1(VALU_DEP_2)
	;; [unrolled: 3-line block ×5, first 2 shown]
	v_add_co_u32 v50, vcc_lo, v48, s2
	v_add_co_ci_u32_e32 v51, vcc_lo, s3, v49, vcc_lo
	s_clause 0x4
	global_store_b128 v[60:61], v[0:3], off
	global_store_b128 v[62:63], v[4:7], off
	;; [unrolled: 1-line block ×10, first 2 shown]
.LBB0_31:
	s_nop 0
	s_sendmsg sendmsg(MSG_DEALLOC_VGPRS)
	s_endpgm
	.section	.rodata,"a",@progbits
	.p2align	6, 0x0
	.amdhsa_kernel bluestein_single_back_len750_dim1_dp_op_CI_CI
		.amdhsa_group_segment_fixed_size 12000
		.amdhsa_private_segment_fixed_size 0
		.amdhsa_kernarg_size 104
		.amdhsa_user_sgpr_count 15
		.amdhsa_user_sgpr_dispatch_ptr 0
		.amdhsa_user_sgpr_queue_ptr 0
		.amdhsa_user_sgpr_kernarg_segment_ptr 1
		.amdhsa_user_sgpr_dispatch_id 0
		.amdhsa_user_sgpr_private_segment_size 0
		.amdhsa_wavefront_size32 1
		.amdhsa_uses_dynamic_stack 0
		.amdhsa_enable_private_segment 0
		.amdhsa_system_sgpr_workgroup_id_x 1
		.amdhsa_system_sgpr_workgroup_id_y 0
		.amdhsa_system_sgpr_workgroup_id_z 0
		.amdhsa_system_sgpr_workgroup_info 0
		.amdhsa_system_vgpr_workitem_id 0
		.amdhsa_next_free_vgpr 189
		.amdhsa_next_free_sgpr 26
		.amdhsa_reserve_vcc 1
		.amdhsa_float_round_mode_32 0
		.amdhsa_float_round_mode_16_64 0
		.amdhsa_float_denorm_mode_32 3
		.amdhsa_float_denorm_mode_16_64 3
		.amdhsa_dx10_clamp 1
		.amdhsa_ieee_mode 1
		.amdhsa_fp16_overflow 0
		.amdhsa_workgroup_processor_mode 1
		.amdhsa_memory_ordered 1
		.amdhsa_forward_progress 0
		.amdhsa_shared_vgpr_count 0
		.amdhsa_exception_fp_ieee_invalid_op 0
		.amdhsa_exception_fp_denorm_src 0
		.amdhsa_exception_fp_ieee_div_zero 0
		.amdhsa_exception_fp_ieee_overflow 0
		.amdhsa_exception_fp_ieee_underflow 0
		.amdhsa_exception_fp_ieee_inexact 0
		.amdhsa_exception_int_div_zero 0
	.end_amdhsa_kernel
	.text
.Lfunc_end0:
	.size	bluestein_single_back_len750_dim1_dp_op_CI_CI, .Lfunc_end0-bluestein_single_back_len750_dim1_dp_op_CI_CI
                                        ; -- End function
	.section	.AMDGPU.csdata,"",@progbits
; Kernel info:
; codeLenInByte = 10448
; NumSgprs: 28
; NumVgprs: 189
; ScratchSize: 0
; MemoryBound: 0
; FloatMode: 240
; IeeeMode: 1
; LDSByteSize: 12000 bytes/workgroup (compile time only)
; SGPRBlocks: 3
; VGPRBlocks: 23
; NumSGPRsForWavesPerEU: 28
; NumVGPRsForWavesPerEU: 189
; Occupancy: 8
; WaveLimiterHint : 1
; COMPUTE_PGM_RSRC2:SCRATCH_EN: 0
; COMPUTE_PGM_RSRC2:USER_SGPR: 15
; COMPUTE_PGM_RSRC2:TRAP_HANDLER: 0
; COMPUTE_PGM_RSRC2:TGID_X_EN: 1
; COMPUTE_PGM_RSRC2:TGID_Y_EN: 0
; COMPUTE_PGM_RSRC2:TGID_Z_EN: 0
; COMPUTE_PGM_RSRC2:TIDIG_COMP_CNT: 0
	.text
	.p2alignl 7, 3214868480
	.fill 96, 4, 3214868480
	.type	__hip_cuid_85f207697dd4cdb1,@object ; @__hip_cuid_85f207697dd4cdb1
	.section	.bss,"aw",@nobits
	.globl	__hip_cuid_85f207697dd4cdb1
__hip_cuid_85f207697dd4cdb1:
	.byte	0                               ; 0x0
	.size	__hip_cuid_85f207697dd4cdb1, 1

	.ident	"AMD clang version 19.0.0git (https://github.com/RadeonOpenCompute/llvm-project roc-6.4.0 25133 c7fe45cf4b819c5991fe208aaa96edf142730f1d)"
	.section	".note.GNU-stack","",@progbits
	.addrsig
	.addrsig_sym __hip_cuid_85f207697dd4cdb1
	.amdgpu_metadata
---
amdhsa.kernels:
  - .args:
      - .actual_access:  read_only
        .address_space:  global
        .offset:         0
        .size:           8
        .value_kind:     global_buffer
      - .actual_access:  read_only
        .address_space:  global
        .offset:         8
        .size:           8
        .value_kind:     global_buffer
      - .actual_access:  read_only
        .address_space:  global
        .offset:         16
        .size:           8
        .value_kind:     global_buffer
      - .actual_access:  read_only
        .address_space:  global
        .offset:         24
        .size:           8
        .value_kind:     global_buffer
      - .actual_access:  read_only
        .address_space:  global
        .offset:         32
        .size:           8
        .value_kind:     global_buffer
      - .offset:         40
        .size:           8
        .value_kind:     by_value
      - .address_space:  global
        .offset:         48
        .size:           8
        .value_kind:     global_buffer
      - .address_space:  global
        .offset:         56
        .size:           8
        .value_kind:     global_buffer
      - .address_space:  global
        .offset:         64
        .size:           8
        .value_kind:     global_buffer
      - .address_space:  global
        .offset:         72
        .size:           8
        .value_kind:     global_buffer
      - .offset:         80
        .size:           4
        .value_kind:     by_value
      - .address_space:  global
        .offset:         88
        .size:           8
        .value_kind:     global_buffer
      - .address_space:  global
        .offset:         96
        .size:           8
        .value_kind:     global_buffer
    .group_segment_fixed_size: 12000
    .kernarg_segment_align: 8
    .kernarg_segment_size: 104
    .language:       OpenCL C
    .language_version:
      - 2
      - 0
    .max_flat_workgroup_size: 250
    .name:           bluestein_single_back_len750_dim1_dp_op_CI_CI
    .private_segment_fixed_size: 0
    .sgpr_count:     28
    .sgpr_spill_count: 0
    .symbol:         bluestein_single_back_len750_dim1_dp_op_CI_CI.kd
    .uniform_work_group_size: 1
    .uses_dynamic_stack: false
    .vgpr_count:     189
    .vgpr_spill_count: 0
    .wavefront_size: 32
    .workgroup_processor_mode: 1
amdhsa.target:   amdgcn-amd-amdhsa--gfx1100
amdhsa.version:
  - 1
  - 2
...

	.end_amdgpu_metadata
